;; amdgpu-corpus repo=zjin-lcf/HeCBench kind=compiled arch=gfx1250 opt=O3
	.amdgcn_target "amdgcn-amd-amdhsa--gfx1250"
	.amdhsa_code_object_version 6
	.text
	.protected	_Z22FP8TrtAddQKVBiasKernel21FP8TrtAddQKVBiasParamI19__hip_fp8_e4m3_fnuz14__hip_bfloat16E ; -- Begin function _Z22FP8TrtAddQKVBiasKernel21FP8TrtAddQKVBiasParamI19__hip_fp8_e4m3_fnuz14__hip_bfloat16E
	.globl	_Z22FP8TrtAddQKVBiasKernel21FP8TrtAddQKVBiasParamI19__hip_fp8_e4m3_fnuz14__hip_bfloat16E
	.p2align	8
	.type	_Z22FP8TrtAddQKVBiasKernel21FP8TrtAddQKVBiasParamI19__hip_fp8_e4m3_fnuz14__hip_bfloat16E,@function
_Z22FP8TrtAddQKVBiasKernel21FP8TrtAddQKVBiasParamI19__hip_fp8_e4m3_fnuz14__hip_bfloat16E: ; @_Z22FP8TrtAddQKVBiasKernel21FP8TrtAddQKVBiasParamI19__hip_fp8_e4m3_fnuz14__hip_bfloat16E
; %bb.0:
	s_load_b64 s[2:3], s[0:1], 0x30
	s_bfe_u32 s4, ttmp6, 0x4000c
	s_and_b32 s5, ttmp6, 15
	s_add_co_i32 s4, s4, 1
	s_getreg_b32 s6, hwreg(HW_REG_IB_STS2, 6, 4)
	s_mul_i32 s4, ttmp9, s4
	v_bfe_u32 v12, v0, 10, 10
	s_add_co_i32 s5, s5, s4
	s_cmp_eq_u32 s6, 0
	v_and_b32_e32 v13, 0x3ff, v0
	s_cselect_b32 s13, ttmp9, s5
	v_bfe_u32 v14, v0, 20, 10
	v_dual_mov_b32 v15, 0 :: v_dual_mov_b32 v16, 0
	s_wait_kmcnt 0x0
	s_ashr_i32 s4, s2, 31
	s_delay_alu instid0(SALU_CYCLE_1) | instskip(NEXT) | instid1(SALU_CYCLE_1)
	s_lshr_b32 s4, s4, 30
	s_add_co_i32 s2, s2, s4
	s_load_b256 s[4:11], s[0:1], 0x0
	s_ashr_i32 s12, s2, 2
	s_ashr_i32 s2, s3, 31
	v_mad_u32 v1, s12, v12, v13
	s_lshr_b32 s2, s2, 30
	s_delay_alu instid0(SALU_CYCLE_1) | instskip(NEXT) | instid1(SALU_CYCLE_1)
	s_add_co_i32 s2, s3, s2
	s_ashr_i32 s2, s2, 2
	s_delay_alu instid0(VALU_DEP_1) | instid1(SALU_CYCLE_1)
	v_mad_u32 v2, s2, v14, v1
	s_mul_i32 s2, s13, s3
	s_mov_b32 s3, 0
	s_mul_i32 s2, s2, 3
	s_wait_kmcnt 0x0
	s_add_nc_u64 s[6:7], s[6:7], s[2:3]
	global_load_b32 v3, v2, s[6:7] scale_offset
	s_wait_xcnt 0x0
	s_mov_b32 s6, exec_lo
	s_wait_loadcnt 0x0
	v_and_b32_e32 v0, 0xff, v3
	s_delay_alu instid0(VALU_DEP_1)
	v_cmpx_ne_u16_e32 0, v0
	s_cbranch_execz .LBB0_6
; %bb.1:
	v_mov_b32_e32 v16, 0x7fc0
	s_mov_b32 s7, exec_lo
	v_cmpx_ne_u16_e32 0x80, v0
	s_cbranch_execz .LBB0_5
; %bb.2:
	v_bfe_u32 v4, v3, 3, 4
	v_dual_mov_b32 v1, 0 :: v_dual_bitop2_b32 v0, 7, v3 bitop3:0x40
	s_mov_b32 s13, exec_lo
	s_delay_alu instid0(VALU_DEP_2)
	v_cmpx_eq_u32_e32 0, v4
; %bb.3:
	s_delay_alu instid0(VALU_DEP_2) | instskip(NEXT) | instid1(VALU_DEP_1)
	v_clz_i32_u32_e32 v4, v0
	v_min_u32_e32 v4, 32, v4
	s_delay_alu instid0(VALU_DEP_1) | instskip(SKIP_1) | instid1(VALU_DEP_2)
	v_subrev_nc_u32_e32 v5, 28, v4
	v_sub_nc_u32_e32 v4, 29, v4
	v_lshlrev_b64_e32 v[0:1], v5, v[0:1]
	s_delay_alu instid0(VALU_DEP_1)
	v_and_b32_e32 v0, 7, v0
; %bb.4:
	s_or_b32 exec_lo, exec_lo, s13
	s_delay_alu instid0(VALU_DEP_1) | instskip(SKIP_1) | instid1(VALU_DEP_2)
	v_dual_lshlrev_b32 v1, 24, v3 :: v_dual_lshlrev_b32 v0, 20, v0
	v_lshl_add_u32 v4, v4, 23, 0x3b800000
	v_and_b32_e32 v1, 0x80000000, v1
	s_delay_alu instid0(VALU_DEP_1) | instskip(NEXT) | instid1(VALU_DEP_1)
	v_or3_b32 v0, v0, v1, v4
	v_cvt_pk_bf16_f32 v16, v0, s0
.LBB0_5:
	s_or_b32 exec_lo, exec_lo, s7
.LBB0_6:
	s_delay_alu instid0(SALU_CYCLE_1) | instskip(SKIP_3) | instid1(VALU_DEP_1)
	s_or_b32 exec_lo, exec_lo, s6
	s_load_b64 s[0:1], s[0:1], 0x20
	v_lshrrev_b32_e32 v0, 8, v3
	s_mov_b32 s6, exec_lo
	v_and_b32_e32 v0, 0xff, v0
	s_delay_alu instid0(VALU_DEP_1)
	v_cmpx_ne_u16_e32 0, v0
	s_cbranch_execz .LBB0_12
; %bb.7:
	v_mov_b32_e32 v15, 0x7fc0
	s_mov_b32 s7, exec_lo
	v_cmpx_ne_u16_e32 0x80, v0
	s_cbranch_execz .LBB0_11
; %bb.8:
	v_bfe_u32 v4, v3, 11, 4
	v_bfe_u32 v0, v3, 8, 3
	v_mov_b32_e32 v1, 0
	s_mov_b32 s13, exec_lo
	s_delay_alu instid0(VALU_DEP_3)
	v_cmpx_eq_u32_e32 0, v4
; %bb.9:
	s_delay_alu instid0(VALU_DEP_3) | instskip(NEXT) | instid1(VALU_DEP_1)
	v_clz_i32_u32_e32 v4, v0
	v_min_u32_e32 v4, 32, v4
	s_delay_alu instid0(VALU_DEP_1) | instskip(SKIP_1) | instid1(VALU_DEP_2)
	v_subrev_nc_u32_e32 v5, 28, v4
	v_sub_nc_u32_e32 v4, 29, v4
	v_lshlrev_b64_e32 v[0:1], v5, v[0:1]
	s_delay_alu instid0(VALU_DEP_1)
	v_and_b32_e32 v0, 7, v0
; %bb.10:
	s_or_b32 exec_lo, exec_lo, s13
	s_delay_alu instid0(VALU_DEP_1) | instskip(SKIP_1) | instid1(VALU_DEP_2)
	v_dual_lshlrev_b32 v1, 16, v3 :: v_dual_lshlrev_b32 v0, 20, v0
	v_lshl_add_u32 v4, v4, 23, 0x3b800000
	v_and_b32_e32 v1, 0x80000000, v1
	s_delay_alu instid0(VALU_DEP_1) | instskip(SKIP_1) | instid1(VALU_DEP_1)
	v_or3_b32 v0, v0, v1, v4
	s_wait_kmcnt 0x0
	v_cvt_pk_bf16_f32 v15, v0, s0
.LBB0_11:
	s_or_b32 exec_lo, exec_lo, s7
.LBB0_12:
	s_delay_alu instid0(SALU_CYCLE_1) | instskip(SKIP_3) | instid1(VALU_DEP_2)
	s_or_b32 exec_lo, exec_lo, s6
	v_dual_lshrrev_b32 v0, 16, v3 :: v_dual_mov_b32 v4, 0
	v_mov_b32_e32 v5, 0
	s_mov_b32 s6, exec_lo
	v_and_b32_e32 v0, 0xff, v0
	s_delay_alu instid0(VALU_DEP_1)
	v_cmpx_ne_u16_e32 0, v0
	s_cbranch_execz .LBB0_18
; %bb.13:
	v_mov_b32_e32 v5, 0x7fc0
	s_mov_b32 s7, exec_lo
	v_cmpx_ne_u16_e32 0x80, v0
	s_cbranch_execz .LBB0_17
; %bb.14:
	v_bfe_u32 v5, v3, 19, 4
	v_bfe_u32 v0, v3, 16, 3
	v_mov_b32_e32 v1, 0
	s_mov_b32 s13, exec_lo
	s_delay_alu instid0(VALU_DEP_3)
	v_cmpx_eq_u32_e32 0, v5
; %bb.15:
	s_delay_alu instid0(VALU_DEP_3) | instskip(NEXT) | instid1(VALU_DEP_1)
	v_clz_i32_u32_e32 v5, v0
	v_min_u32_e32 v5, 32, v5
	s_delay_alu instid0(VALU_DEP_1) | instskip(NEXT) | instid1(VALU_DEP_1)
	v_subrev_nc_u32_e32 v6, 28, v5
	v_lshlrev_b64_e32 v[0:1], v6, v[0:1]
	s_delay_alu instid0(VALU_DEP_1)
	v_dual_sub_nc_u32 v5, 29, v5 :: v_dual_bitop2_b32 v0, 7, v0 bitop3:0x40
; %bb.16:
	s_or_b32 exec_lo, exec_lo, s13
	s_delay_alu instid0(VALU_DEP_1) | instskip(NEXT) | instid1(VALU_DEP_2)
	v_dual_lshlrev_b32 v1, 8, v3 :: v_dual_lshlrev_b32 v0, 20, v0
	v_lshl_add_u32 v5, v5, 23, 0x3b800000
	s_delay_alu instid0(VALU_DEP_2) | instskip(NEXT) | instid1(VALU_DEP_1)
	v_and_b32_e32 v1, 0x80000000, v1
	v_or3_b32 v0, v0, v1, v5
	s_wait_kmcnt 0x0
	s_delay_alu instid0(VALU_DEP_1)
	v_cvt_pk_bf16_f32 v5, v0, s0
.LBB0_17:
	s_or_b32 exec_lo, exec_lo, s7
.LBB0_18:
	s_delay_alu instid0(SALU_CYCLE_1) | instskip(NEXT) | instid1(SALU_CYCLE_1)
	s_or_b32 exec_lo, exec_lo, s6
	s_mov_b32 s6, exec_lo
	v_cmpx_lt_u32_e32 0xffffff, v3
	s_cbranch_execz .LBB0_24
; %bb.19:
	v_lshrrev_b32_e32 v6, 24, v3
	v_mov_b32_e32 v4, 0x7fc0
	s_mov_b32 s7, exec_lo
	s_delay_alu instid0(VALU_DEP_2)
	v_cmpx_ne_u32_e32 0x80, v6
	s_cbranch_execz .LBB0_23
; %bb.20:
	v_bfe_u32 v4, v3, 27, 4
	v_mov_b32_e32 v1, 0
	v_bfe_u32 v0, v3, 24, 3
	s_mov_b32 s13, exec_lo
	s_delay_alu instid0(VALU_DEP_3)
	v_cmpx_eq_u32_e32 0, v4
; %bb.21:
	s_delay_alu instid0(VALU_DEP_2) | instskip(NEXT) | instid1(VALU_DEP_1)
	v_clz_i32_u32_e32 v3, v0
	v_min_u32_e32 v3, 32, v3
	s_delay_alu instid0(VALU_DEP_1) | instskip(NEXT) | instid1(VALU_DEP_1)
	v_subrev_nc_u32_e32 v4, 28, v3
	v_lshlrev_b64_e32 v[0:1], v4, v[0:1]
	s_delay_alu instid0(VALU_DEP_1)
	v_dual_sub_nc_u32 v4, 29, v3 :: v_dual_bitop2_b32 v0, 7, v0 bitop3:0x40
; %bb.22:
	s_or_b32 exec_lo, exec_lo, s13
	s_delay_alu instid0(VALU_DEP_1) | instskip(NEXT) | instid1(VALU_DEP_2)
	v_dual_lshlrev_b32 v1, 24, v6 :: v_dual_lshlrev_b32 v0, 20, v0
	v_lshl_add_u32 v3, v4, 23, 0x3b800000
	s_delay_alu instid0(VALU_DEP_2) | instskip(NEXT) | instid1(VALU_DEP_1)
	v_and_b32_e32 v1, 0x80000000, v1
	v_or3_b32 v0, v0, v1, v3
	s_wait_kmcnt 0x0
	s_delay_alu instid0(VALU_DEP_1)
	v_cvt_pk_bf16_f32 v4, v0, s0
.LBB0_23:
	s_or_b32 exec_lo, exec_lo, s7
.LBB0_24:
	s_delay_alu instid0(SALU_CYCLE_1) | instskip(SKIP_1) | instid1(VALU_DEP_1)
	s_or_b32 exec_lo, exec_lo, s6
	v_dual_mov_b32 v17, 0x80 :: v_dual_lshlrev_b32 v0, 1, v2
	v_ashrrev_i32_e32 v1, 31, v0
	s_delay_alu instid0(VALU_DEP_1)
	v_lshl_add_u64 v[0:1], v[0:1], 2, s[8:9]
	global_load_b64 v[2:3], v[0:1], off
	s_load_b32 s6, s[10:11], 0x0
	s_wait_kmcnt 0x0
	s_load_b32 s7, s[0:1], 0x0
	v_perm_b32 v1, v4, v5, 0x5040100
	v_mov_b32_e32 v5, 0
	s_wait_xcnt 0x0
	s_mov_b32 s1, exec_lo
	v_cvt_pk_bf16_f32 v0, s6, s0
	s_wait_kmcnt 0x0
	v_cvt_pk_bf16_f32 v4, s7, s0
	s_wait_loadcnt 0x0
	s_delay_alu instid0(VALU_DEP_2) | instskip(SKIP_1) | instid1(VALU_DEP_2)
	v_pk_fma_bf16 v0, v1, v0, v3 op_sel_hi:[1,0,1]
	v_mov_b32_e32 v1, 0x80
	v_pk_mul_bf16 v0, v4, v0 op_sel_hi:[0,1]
	s_delay_alu instid0(VALU_DEP_1) | instskip(NEXT) | instid1(VALU_DEP_1)
	v_and_b32_e32 v4, 0x7f800000, v0
	v_cmpx_ne_u64_e32 0x7f800000, v[4:5]
	s_cbranch_execz .LBB0_38
; %bb.25:
	v_and_b32_e32 v6, 0xffff0000, v0
                                        ; implicit-def: $vgpr17
	s_mov_b32 s0, exec_lo
	s_delay_alu instid0(VALU_DEP_1) | instskip(SKIP_1) | instid1(VALU_DEP_2)
	v_and_b32_e32 v4, 0x7fffffff, v6
	v_lshrrev_b32_e32 v3, 24, v6
	v_cmpx_gt_u64_e32 0x43700001, v[4:5]
	s_xor_b32 s8, exec_lo, s0
	s_cbranch_execz .LBB0_35
; %bb.26:
	v_mov_b32_e32 v17, 0
	s_mov_b32 s9, exec_lo
	v_cmpx_ne_u32_e32 0, v6
	s_cbranch_execz .LBB0_34
; %bb.27:
	v_bfe_u32 v4, v6, 23, 8
	v_and_b32_e32 v6, 0x7fffff, v6
	s_delay_alu instid0(VALU_DEP_2) | instskip(NEXT) | instid1(VALU_DEP_2)
	v_cmp_gt_u32_e32 vcc_lo, 0x79, v4
	v_or_b32_e32 v10, 0x800000, v6
	v_sub_nc_u32_e32 v7, 0x78, v4
	s_delay_alu instid0(VALU_DEP_1) | instskip(SKIP_1) | instid1(VALU_DEP_2)
	v_cndmask_b32_e32 v7, 0, v7, vcc_lo
	v_cmp_eq_u32_e32 vcc_lo, 0, v4
	v_cndmask_b32_e64 v17, v7, 0x77, vcc_lo
	s_delay_alu instid0(VALU_DEP_1) | instskip(SKIP_1) | instid1(VALU_DEP_2)
	v_dual_cndmask_b32 v6, v10, v6 :: v_dual_add_nc_u32 v7, 20, v17
	v_add_nc_u32_e32 v11, 19, v17
	v_lshlrev_b64_e64 v[8:9], v7, -1
	v_mov_b32_e32 v7, 0
	s_delay_alu instid0(VALU_DEP_3) | instskip(NEXT) | instid1(VALU_DEP_3)
	v_lshlrev_b64_e64 v[10:11], v11, 1
	v_bfi_b32 v19, v9, 0, 0
	s_delay_alu instid0(VALU_DEP_4) | instskip(NEXT) | instid1(VALU_DEP_4)
	v_bfi_b32 v18, v8, 0, v6
	v_lshrrev_b64 v[8:9], v17, v[6:7]
	s_delay_alu instid0(VALU_DEP_2) | instskip(NEXT) | instid1(VALU_DEP_2)
	v_cmp_eq_u64_e64 s0, v[18:19], v[10:11]
	v_mov_b64_e32 v[10:11], v[8:9]
	s_and_saveexec_b32 s10, s0
; %bb.28:
	v_bfe_u32 v6, v8, 20, 1
	s_delay_alu instid0(VALU_DEP_1) | instskip(NEXT) | instid1(VALU_DEP_1)
	v_add_nc_u64_e32 v[10:11], v[8:9], v[6:7]
	v_add_nc_u64_e32 v[10:11], -1, v[10:11]
; %bb.29:
	s_or_b32 exec_lo, exec_lo, s10
	v_add_nc_u32_e32 v4, 0xffffff81, v4
	v_lshrrev_b32_e32 v6, 23, v8
	s_mov_b32 s0, exec_lo
	s_delay_alu instid0(VALU_DEP_2) | instskip(NEXT) | instid1(VALU_DEP_1)
	v_cndmask_b32_e64 v4, v4, 0xffffff82, vcc_lo
	v_add3_u32 v9, v17, v4, v6
	v_and_b32_e32 v4, 0xfffff, v10
	s_delay_alu instid0(VALU_DEP_1) | instskip(NEXT) | instid1(VALU_DEP_1)
	v_dual_add_nc_u32 v10, 7, v9 :: v_dual_add_nc_u32 v6, v4, v8
                                        ; implicit-def: $vgpr4
	v_cmpx_ne_u32_e32 0, v10
	s_xor_b32 s0, exec_lo, s0
; %bb.30:
	s_delay_alu instid0(VALU_DEP_2) | instskip(SKIP_2) | instid1(VALU_DEP_2)
	v_cmp_lt_u64_e32 vcc_lo, 0xffffff, v[6:7]
	v_add_nc_u32_e32 v4, 8, v9
	v_cndmask_b32_e64 v8, 0, 1, vcc_lo
	v_cndmask_b32_e32 v4, v10, v4, vcc_lo
	s_delay_alu instid0(VALU_DEP_2)
	v_lshrrev_b64 v[6:7], v8, v[6:7]
; %bb.31:
	s_and_not1_saveexec_b32 s0, s0
; %bb.32:
	s_delay_alu instid0(VALU_DEP_1)
	v_bfe_u32 v4, v6, 23, 1
; %bb.33:
	s_or_b32 exec_lo, exec_lo, s0
	s_delay_alu instid0(VALU_DEP_2) | instskip(NEXT) | instid1(VALU_DEP_2)
	v_lshrrev_b64 v[6:7], 20, v[6:7]
	v_cmp_gt_i32_e32 vcc_lo, 16, v4
	v_min_i32_e32 v8, 15, v4
	v_and_b32_e32 v3, 0x80, v3
	v_cmp_eq_u32_e64 s0, 0, v4
	v_dual_cndmask_b32 v7, 0, v7 :: v_dual_cndmask_b32 v6, 7, v6
	s_delay_alu instid0(VALU_DEP_1) | instskip(NEXT) | instid1(VALU_DEP_1)
	v_dual_lshlrev_b32 v8, 3, v8 :: v_dual_bitop2_b32 v9, 7, v6 bitop3:0x40
	v_and_b32_e32 v8, 0xf8, v8
	s_delay_alu instid0(VALU_DEP_3) | instskip(NEXT) | instid1(VALU_DEP_2)
	v_cmp_eq_u64_e32 vcc_lo, 0, v[6:7]
	v_or3_b32 v3, v8, v3, v9
	s_and_b32 s0, s0, vcc_lo
	s_delay_alu instid0(VALU_DEP_1) | instid1(SALU_CYCLE_1)
	v_cndmask_b32_e64 v17, v3, 0, s0
.LBB0_34:
	s_or_b32 exec_lo, exec_lo, s9
                                        ; implicit-def: $vgpr3
.LBB0_35:
	s_and_not1_saveexec_b32 s0, s8
; %bb.36:
	v_or_b32_e32 v17, 0x7f, v3
; %bb.37:
	s_or_b32 exec_lo, exec_lo, s0
.LBB0_38:
	s_delay_alu instid0(SALU_CYCLE_1) | instskip(SKIP_4) | instid1(VALU_DEP_3)
	s_or_b32 exec_lo, exec_lo, s1
	v_lshlrev_b32_e32 v6, 16, v0
	v_cvt_pk_bf16_f32 v3, s6, s6
	v_cvt_pk_bf16_f32 v8, s7, s7
	s_mov_b32 s1, exec_lo
	v_and_b32_e32 v4, 0x7f800000, v6
	s_delay_alu instid0(VALU_DEP_1)
	v_cmpx_ne_u64_e32 0x7f800000, v[4:5]
	s_cbranch_execz .LBB0_52
; %bb.39:
	v_and_b32_e32 v0, 0x7fffffff, v6
	v_dual_mov_b32 v1, 0 :: v_dual_lshrrev_b32 v9, 24, v6
	s_mov_b32 s0, exec_lo
	s_delay_alu instid0(VALU_DEP_1)
	v_cmpx_gt_u64_e32 0x43700001, v[0:1]
	s_xor_b32 s6, exec_lo, s0
	s_cbranch_execz .LBB0_49
; %bb.40:
	s_mov_b32 s7, exec_lo
	v_cmpx_ne_u32_e32 0, v6
	s_cbranch_execz .LBB0_48
; %bb.41:
	v_bfe_u32 v10, v6, 23, 8
	s_delay_alu instid0(VALU_DEP_1) | instskip(SKIP_1) | instid1(VALU_DEP_2)
	v_sub_nc_u32_e32 v0, 0x78, v10
	v_cmp_gt_u32_e32 vcc_lo, 0x79, v10
	v_cndmask_b32_e32 v0, 0, v0, vcc_lo
	v_cmp_eq_u32_e32 vcc_lo, 0, v10
	s_delay_alu instid0(VALU_DEP_2) | instskip(SKIP_1) | instid1(VALU_DEP_2)
	v_cndmask_b32_e64 v11, v0, 0x77, vcc_lo
	v_and_b32_e32 v0, 0x7fffff, v6
	v_add_nc_u32_e32 v1, 20, v11
	s_delay_alu instid0(VALU_DEP_2) | instskip(SKIP_1) | instid1(VALU_DEP_3)
	v_or_b32_e32 v6, 0x800000, v0
	v_add_nc_u32_e32 v7, 19, v11
	v_lshlrev_b64_e64 v[4:5], v1, -1
	s_delay_alu instid0(VALU_DEP_3) | instskip(NEXT) | instid1(VALU_DEP_3)
	v_dual_cndmask_b32 v0, v6, v0 :: v_dual_mov_b32 v1, 0
	v_lshlrev_b64_e64 v[6:7], v7, 1
	s_delay_alu instid0(VALU_DEP_3) | instskip(NEXT) | instid1(VALU_DEP_3)
	v_bfi_b32 v19, v5, 0, 0
	v_bfi_b32 v18, v4, 0, v0
	s_delay_alu instid0(VALU_DEP_4) | instskip(NEXT) | instid1(VALU_DEP_2)
	v_lshrrev_b64 v[4:5], v11, v[0:1]
	v_cmp_eq_u64_e64 s0, v[18:19], v[6:7]
	s_delay_alu instid0(VALU_DEP_2)
	v_mov_b64_e32 v[6:7], v[4:5]
	s_and_saveexec_b32 s8, s0
; %bb.42:
	v_bfe_u32 v0, v4, 20, 1
	s_delay_alu instid0(VALU_DEP_1) | instskip(NEXT) | instid1(VALU_DEP_1)
	v_add_nc_u64_e32 v[6:7], v[4:5], v[0:1]
	v_add_nc_u64_e32 v[6:7], -1, v[6:7]
; %bb.43:
	s_or_b32 exec_lo, exec_lo, s8
	v_add_nc_u32_e32 v0, 0xffffff81, v10
	v_lshrrev_b32_e32 v5, 23, v4
	s_mov_b32 s0, exec_lo
	s_delay_alu instid0(VALU_DEP_2) | instskip(NEXT) | instid1(VALU_DEP_1)
	v_cndmask_b32_e64 v0, v0, 0xffffff82, vcc_lo
	v_add3_u32 v5, v11, v0, v5
	v_and_b32_e32 v0, 0xfffff, v6
	s_delay_alu instid0(VALU_DEP_1) | instskip(NEXT) | instid1(VALU_DEP_1)
	v_dual_add_nc_u32 v6, 7, v5 :: v_dual_add_nc_u32 v0, v0, v4
                                        ; implicit-def: $vgpr4
	v_cmpx_ne_u32_e32 0, v6
	s_xor_b32 s0, exec_lo, s0
; %bb.44:
	s_delay_alu instid0(VALU_DEP_2) | instskip(SKIP_2) | instid1(VALU_DEP_2)
	v_cmp_lt_u64_e32 vcc_lo, 0xffffff, v[0:1]
	v_add_nc_u32_e32 v4, 8, v5
	v_cndmask_b32_e64 v5, 0, 1, vcc_lo
	v_cndmask_b32_e32 v4, v6, v4, vcc_lo
	s_delay_alu instid0(VALU_DEP_2)
	v_lshrrev_b64 v[0:1], v5, v[0:1]
; %bb.45:
	s_and_not1_saveexec_b32 s0, s0
; %bb.46:
	s_delay_alu instid0(VALU_DEP_1)
	v_bfe_u32 v4, v0, 23, 1
; %bb.47:
	s_or_b32 exec_lo, exec_lo, s0
	s_delay_alu instid0(VALU_DEP_2) | instskip(NEXT) | instid1(VALU_DEP_2)
	v_lshrrev_b64 v[0:1], 20, v[0:1]
	v_cmp_gt_i32_e32 vcc_lo, 16, v4
	v_min_i32_e32 v5, 15, v4
	v_and_b32_e32 v6, 0x80, v9
	v_cmp_eq_u32_e64 s0, 0, v4
	v_dual_cndmask_b32 v1, 0, v1 :: v_dual_cndmask_b32 v0, 7, v0
	s_delay_alu instid0(VALU_DEP_1) | instskip(NEXT) | instid1(VALU_DEP_1)
	v_dual_lshlrev_b32 v5, 3, v5 :: v_dual_bitop2_b32 v7, 7, v0 bitop3:0x40
	v_and_b32_e32 v5, 0xf8, v5
	s_delay_alu instid0(VALU_DEP_3) | instskip(NEXT) | instid1(VALU_DEP_2)
	v_cmp_eq_u64_e32 vcc_lo, 0, v[0:1]
	v_or3_b32 v0, v5, v6, v7
	s_and_b32 s0, s0, vcc_lo
	s_delay_alu instid0(VALU_DEP_1) | instid1(SALU_CYCLE_1)
	v_cndmask_b32_e64 v1, v0, 0, s0
.LBB0_48:
	s_or_b32 exec_lo, exec_lo, s7
                                        ; implicit-def: $vgpr9
.LBB0_49:
	s_and_not1_saveexec_b32 s0, s6
; %bb.50:
	v_or_b32_e32 v1, 0x7f, v9
; %bb.51:
	s_or_b32 exec_lo, exec_lo, s0
.LBB0_52:
	s_delay_alu instid0(SALU_CYCLE_1) | instskip(SKIP_3) | instid1(VALU_DEP_2)
	s_or_b32 exec_lo, exec_lo, s1
	v_perm_b32 v0, v15, v16, 0x5040100
	v_mov_b32_e32 v5, 0
	s_mov_b32 s1, exec_lo
	v_pk_fma_bf16 v0, v0, v3, v2
	v_mov_b32_e32 v3, 0x80
	s_delay_alu instid0(VALU_DEP_2) | instskip(SKIP_1) | instid1(VALU_DEP_2)
	v_pk_mul_bf16 v2, v8, v0
	v_mov_b32_e32 v0, 0x80
	v_and_b32_e32 v4, 0x7f800000, v2
	s_delay_alu instid0(VALU_DEP_1)
	v_cmpx_ne_u64_e32 0x7f800000, v[4:5]
	s_cbranch_execz .LBB0_66
; %bb.53:
	v_and_b32_e32 v6, 0xffff0000, v2
                                        ; implicit-def: $vgpr0
	s_delay_alu instid0(VALU_DEP_1) | instskip(NEXT) | instid1(VALU_DEP_1)
	v_and_b32_e32 v4, 0x7fffffff, v6
	v_cmp_gt_u64_e32 vcc_lo, 0x43700001, v[4:5]
	v_lshrrev_b32_e32 v4, 24, v6
	s_and_saveexec_b32 s0, vcc_lo
	s_delay_alu instid0(SALU_CYCLE_1)
	s_xor_b32 s6, exec_lo, s0
	s_cbranch_execz .LBB0_63
; %bb.54:
	v_mov_b32_e32 v0, 0
	s_mov_b32 s7, exec_lo
	v_cmpx_ne_u32_e32 0, v6
	s_cbranch_execz .LBB0_62
; %bb.55:
	v_bfe_u32 v0, v6, 23, 8
	v_and_b32_e32 v6, 0x7fffff, v6
	s_delay_alu instid0(VALU_DEP_2) | instskip(NEXT) | instid1(VALU_DEP_2)
	v_cmp_gt_u32_e32 vcc_lo, 0x79, v0
	v_or_b32_e32 v10, 0x800000, v6
	v_sub_nc_u32_e32 v7, 0x78, v0
	s_delay_alu instid0(VALU_DEP_1) | instskip(SKIP_1) | instid1(VALU_DEP_2)
	v_cndmask_b32_e32 v7, 0, v7, vcc_lo
	v_cmp_eq_u32_e32 vcc_lo, 0, v0
	v_cndmask_b32_e64 v15, v7, 0x77, vcc_lo
	s_delay_alu instid0(VALU_DEP_1) | instskip(SKIP_1) | instid1(VALU_DEP_2)
	v_dual_cndmask_b32 v6, v10, v6 :: v_dual_add_nc_u32 v7, 20, v15
	v_add_nc_u32_e32 v11, 19, v15
	v_lshlrev_b64_e64 v[8:9], v7, -1
	v_mov_b32_e32 v7, 0
	s_delay_alu instid0(VALU_DEP_3) | instskip(NEXT) | instid1(VALU_DEP_3)
	v_lshlrev_b64_e64 v[10:11], v11, 1
	v_bfi_b32 v19, v9, 0, 0
	s_delay_alu instid0(VALU_DEP_4) | instskip(NEXT) | instid1(VALU_DEP_4)
	v_bfi_b32 v18, v8, 0, v6
	v_lshrrev_b64 v[8:9], v15, v[6:7]
	s_delay_alu instid0(VALU_DEP_2) | instskip(NEXT) | instid1(VALU_DEP_2)
	v_cmp_eq_u64_e64 s0, v[18:19], v[10:11]
	v_mov_b64_e32 v[10:11], v[8:9]
	s_and_saveexec_b32 s8, s0
; %bb.56:
	v_bfe_u32 v6, v8, 20, 1
	s_delay_alu instid0(VALU_DEP_1) | instskip(NEXT) | instid1(VALU_DEP_1)
	v_add_nc_u64_e32 v[10:11], v[8:9], v[6:7]
	v_add_nc_u64_e32 v[10:11], -1, v[10:11]
; %bb.57:
	s_or_b32 exec_lo, exec_lo, s8
	v_add_nc_u32_e32 v0, 0xffffff81, v0
	v_lshrrev_b32_e32 v6, 23, v8
	s_mov_b32 s0, exec_lo
	s_delay_alu instid0(VALU_DEP_2) | instskip(NEXT) | instid1(VALU_DEP_1)
	v_cndmask_b32_e64 v0, v0, 0xffffff82, vcc_lo
	v_add3_u32 v9, v15, v0, v6
	v_and_b32_e32 v0, 0xfffff, v10
	s_delay_alu instid0(VALU_DEP_1) | instskip(NEXT) | instid1(VALU_DEP_1)
	v_dual_add_nc_u32 v10, 7, v9 :: v_dual_add_nc_u32 v6, v0, v8
                                        ; implicit-def: $vgpr0
	v_cmpx_ne_u32_e32 0, v10
	s_xor_b32 s0, exec_lo, s0
; %bb.58:
	s_delay_alu instid0(VALU_DEP_2) | instskip(SKIP_2) | instid1(VALU_DEP_2)
	v_cmp_lt_u64_e32 vcc_lo, 0xffffff, v[6:7]
	v_add_nc_u32_e32 v0, 8, v9
	v_cndmask_b32_e64 v8, 0, 1, vcc_lo
	v_cndmask_b32_e32 v0, v10, v0, vcc_lo
	s_delay_alu instid0(VALU_DEP_2)
	v_lshrrev_b64 v[6:7], v8, v[6:7]
; %bb.59:
	s_and_not1_saveexec_b32 s0, s0
; %bb.60:
	s_delay_alu instid0(VALU_DEP_1)
	v_bfe_u32 v0, v6, 23, 1
; %bb.61:
	s_or_b32 exec_lo, exec_lo, s0
	s_delay_alu instid0(VALU_DEP_2) | instskip(NEXT) | instid1(VALU_DEP_2)
	v_lshrrev_b64 v[6:7], 20, v[6:7]
	v_cmp_gt_i32_e32 vcc_lo, 16, v0
	v_min_i32_e32 v8, 15, v0
	v_and_b32_e32 v4, 0x80, v4
	v_cmp_eq_u32_e64 s0, 0, v0
	v_dual_cndmask_b32 v7, 0, v7 :: v_dual_cndmask_b32 v6, 7, v6
	s_delay_alu instid0(VALU_DEP_1) | instskip(NEXT) | instid1(VALU_DEP_1)
	v_dual_lshlrev_b32 v8, 3, v8 :: v_dual_bitop2_b32 v9, 7, v6 bitop3:0x40
	v_and_b32_e32 v8, 0xf8, v8
	s_delay_alu instid0(VALU_DEP_3) | instskip(NEXT) | instid1(VALU_DEP_2)
	v_cmp_eq_u64_e32 vcc_lo, 0, v[6:7]
	v_or3_b32 v0, v8, v4, v9
	s_and_b32 s0, s0, vcc_lo
	s_delay_alu instid0(VALU_DEP_1) | instid1(SALU_CYCLE_1)
	v_cndmask_b32_e64 v0, v0, 0, s0
.LBB0_62:
	s_or_b32 exec_lo, exec_lo, s7
                                        ; implicit-def: $vgpr4
.LBB0_63:
	s_and_not1_saveexec_b32 s0, s6
; %bb.64:
	v_or_b32_e32 v0, 0x7f, v4
; %bb.65:
	s_or_b32 exec_lo, exec_lo, s0
.LBB0_66:
	s_delay_alu instid0(SALU_CYCLE_1) | instskip(SKIP_2) | instid1(VALU_DEP_1)
	s_or_b32 exec_lo, exec_lo, s1
	v_lshlrev_b32_e32 v6, 16, v2
	s_mov_b32 s1, exec_lo
	v_and_b32_e32 v4, 0x7f800000, v6
	s_delay_alu instid0(VALU_DEP_1)
	v_cmpx_ne_u64_e32 0x7f800000, v[4:5]
	s_cbranch_execz .LBB0_80
; %bb.67:
	v_and_b32_e32 v2, 0x7fffffff, v6
	v_dual_mov_b32 v3, 0 :: v_dual_lshrrev_b32 v8, 24, v6
	s_mov_b32 s0, exec_lo
	s_delay_alu instid0(VALU_DEP_1)
	v_cmpx_gt_u64_e32 0x43700001, v[2:3]
	s_xor_b32 s6, exec_lo, s0
	s_cbranch_execz .LBB0_77
; %bb.68:
	s_mov_b32 s7, exec_lo
	v_cmpx_ne_u32_e32 0, v6
	s_cbranch_execz .LBB0_76
; %bb.69:
	v_bfe_u32 v9, v6, 23, 8
	s_delay_alu instid0(VALU_DEP_1) | instskip(SKIP_1) | instid1(VALU_DEP_2)
	v_sub_nc_u32_e32 v2, 0x78, v9
	v_cmp_gt_u32_e32 vcc_lo, 0x79, v9
	v_cndmask_b32_e32 v2, 0, v2, vcc_lo
	v_cmp_eq_u32_e32 vcc_lo, 0, v9
	s_delay_alu instid0(VALU_DEP_2) | instskip(SKIP_1) | instid1(VALU_DEP_2)
	v_cndmask_b32_e64 v10, v2, 0x77, vcc_lo
	v_and_b32_e32 v2, 0x7fffff, v6
	v_dual_add_nc_u32 v3, 20, v10 :: v_dual_add_nc_u32 v7, 19, v10
	s_delay_alu instid0(VALU_DEP_2) | instskip(NEXT) | instid1(VALU_DEP_2)
	v_or_b32_e32 v6, 0x800000, v2
	v_lshlrev_b64_e64 v[4:5], v3, -1
	s_delay_alu instid0(VALU_DEP_2) | instskip(NEXT) | instid1(VALU_DEP_4)
	v_dual_mov_b32 v3, 0 :: v_dual_cndmask_b32 v2, v6, v2
	v_lshlrev_b64_e64 v[6:7], v7, 1
	s_delay_alu instid0(VALU_DEP_3) | instskip(NEXT) | instid1(VALU_DEP_3)
	v_bfi_b32 v19, v5, 0, 0
	v_bfi_b32 v18, v4, 0, v2
	s_delay_alu instid0(VALU_DEP_4) | instskip(NEXT) | instid1(VALU_DEP_2)
	v_lshrrev_b64 v[4:5], v10, v[2:3]
	v_cmp_eq_u64_e64 s0, v[18:19], v[6:7]
	s_delay_alu instid0(VALU_DEP_2)
	v_mov_b64_e32 v[6:7], v[4:5]
	s_and_saveexec_b32 s8, s0
; %bb.70:
	v_bfe_u32 v2, v4, 20, 1
	s_delay_alu instid0(VALU_DEP_1) | instskip(NEXT) | instid1(VALU_DEP_1)
	v_add_nc_u64_e32 v[6:7], v[4:5], v[2:3]
	v_add_nc_u64_e32 v[6:7], -1, v[6:7]
; %bb.71:
	s_or_b32 exec_lo, exec_lo, s8
	v_add_nc_u32_e32 v2, 0xffffff81, v9
	v_lshrrev_b32_e32 v5, 23, v4
	s_mov_b32 s0, exec_lo
	s_delay_alu instid0(VALU_DEP_2) | instskip(NEXT) | instid1(VALU_DEP_1)
	v_cndmask_b32_e64 v2, v2, 0xffffff82, vcc_lo
	v_add3_u32 v5, v10, v2, v5
	v_and_b32_e32 v2, 0xfffff, v6
	s_delay_alu instid0(VALU_DEP_1) | instskip(NEXT) | instid1(VALU_DEP_1)
	v_dual_add_nc_u32 v6, 7, v5 :: v_dual_add_nc_u32 v2, v2, v4
                                        ; implicit-def: $vgpr4
	v_cmpx_ne_u32_e32 0, v6
	s_xor_b32 s0, exec_lo, s0
; %bb.72:
	s_delay_alu instid0(VALU_DEP_2) | instskip(SKIP_2) | instid1(VALU_DEP_2)
	v_cmp_lt_u64_e32 vcc_lo, 0xffffff, v[2:3]
	v_add_nc_u32_e32 v4, 8, v5
	v_cndmask_b32_e64 v5, 0, 1, vcc_lo
	v_cndmask_b32_e32 v4, v6, v4, vcc_lo
	s_delay_alu instid0(VALU_DEP_2)
	v_lshrrev_b64 v[2:3], v5, v[2:3]
; %bb.73:
	s_and_not1_saveexec_b32 s0, s0
; %bb.74:
	s_delay_alu instid0(VALU_DEP_1)
	v_bfe_u32 v4, v2, 23, 1
; %bb.75:
	s_or_b32 exec_lo, exec_lo, s0
	s_delay_alu instid0(VALU_DEP_2) | instskip(NEXT) | instid1(VALU_DEP_2)
	v_lshrrev_b64 v[2:3], 20, v[2:3]
	v_cmp_gt_i32_e32 vcc_lo, 16, v4
	v_min_i32_e32 v5, 15, v4
	v_and_b32_e32 v6, 0x80, v8
	v_cmp_eq_u32_e64 s0, 0, v4
	v_dual_cndmask_b32 v3, 0, v3 :: v_dual_cndmask_b32 v2, 7, v2
	s_delay_alu instid0(VALU_DEP_1) | instskip(NEXT) | instid1(VALU_DEP_1)
	v_dual_lshlrev_b32 v5, 3, v5 :: v_dual_bitop2_b32 v7, 7, v2 bitop3:0x40
	v_and_b32_e32 v5, 0xf8, v5
	s_delay_alu instid0(VALU_DEP_3) | instskip(NEXT) | instid1(VALU_DEP_2)
	v_cmp_eq_u64_e32 vcc_lo, 0, v[2:3]
	v_or3_b32 v2, v5, v6, v7
	s_and_b32 s0, s0, vcc_lo
	s_delay_alu instid0(VALU_DEP_1) | instid1(SALU_CYCLE_1)
	v_cndmask_b32_e64 v3, v2, 0, s0
.LBB0_76:
	s_or_b32 exec_lo, exec_lo, s7
                                        ; implicit-def: $vgpr8
.LBB0_77:
	s_and_not1_saveexec_b32 s0, s6
; %bb.78:
	v_or_b32_e32 v3, 0x7f, v8
; %bb.79:
	s_or_b32 exec_lo, exec_lo, s0
.LBB0_80:
	s_delay_alu instid0(SALU_CYCLE_1) | instskip(SKIP_1) | instid1(VALU_DEP_2)
	s_or_b32 exec_lo, exec_lo, s1
	v_mad_u32_u24 v2, v12, 3, v14
	v_dual_lshlrev_b32 v0, 24, v0 :: v_dual_lshlrev_b32 v3, 16, v3
	v_lshl_or_b32 v1, v17, 8, v1
	s_add_nc_u64 s[0:1], s[4:5], s[2:3]
	s_delay_alu instid0(VALU_DEP_3) | instskip(NEXT) | instid1(VALU_DEP_2)
	v_mad_u32 v2, s12, v2, v13
	v_or3_b32 v0, v1, v0, v3
	global_store_b32 v2, v0, s[0:1] scale_offset
	s_endpgm
	.section	.rodata,"a",@progbits
	.p2align	6, 0x0
	.amdhsa_kernel _Z22FP8TrtAddQKVBiasKernel21FP8TrtAddQKVBiasParamI19__hip_fp8_e4m3_fnuz14__hip_bfloat16E
		.amdhsa_group_segment_fixed_size 0
		.amdhsa_private_segment_fixed_size 0
		.amdhsa_kernarg_size 56
		.amdhsa_user_sgpr_count 2
		.amdhsa_user_sgpr_dispatch_ptr 0
		.amdhsa_user_sgpr_queue_ptr 0
		.amdhsa_user_sgpr_kernarg_segment_ptr 1
		.amdhsa_user_sgpr_dispatch_id 0
		.amdhsa_user_sgpr_kernarg_preload_length 0
		.amdhsa_user_sgpr_kernarg_preload_offset 0
		.amdhsa_user_sgpr_private_segment_size 0
		.amdhsa_wavefront_size32 1
		.amdhsa_uses_dynamic_stack 0
		.amdhsa_enable_private_segment 0
		.amdhsa_system_sgpr_workgroup_id_x 1
		.amdhsa_system_sgpr_workgroup_id_y 0
		.amdhsa_system_sgpr_workgroup_id_z 0
		.amdhsa_system_sgpr_workgroup_info 0
		.amdhsa_system_vgpr_workitem_id 2
		.amdhsa_next_free_vgpr 20
		.amdhsa_next_free_sgpr 14
		.amdhsa_named_barrier_count 0
		.amdhsa_reserve_vcc 1
		.amdhsa_float_round_mode_32 0
		.amdhsa_float_round_mode_16_64 0
		.amdhsa_float_denorm_mode_32 3
		.amdhsa_float_denorm_mode_16_64 3
		.amdhsa_fp16_overflow 0
		.amdhsa_memory_ordered 1
		.amdhsa_forward_progress 1
		.amdhsa_inst_pref_size 27
		.amdhsa_round_robin_scheduling 0
		.amdhsa_exception_fp_ieee_invalid_op 0
		.amdhsa_exception_fp_denorm_src 0
		.amdhsa_exception_fp_ieee_div_zero 0
		.amdhsa_exception_fp_ieee_overflow 0
		.amdhsa_exception_fp_ieee_underflow 0
		.amdhsa_exception_fp_ieee_inexact 0
		.amdhsa_exception_int_div_zero 0
	.end_amdhsa_kernel
	.text
.Lfunc_end0:
	.size	_Z22FP8TrtAddQKVBiasKernel21FP8TrtAddQKVBiasParamI19__hip_fp8_e4m3_fnuz14__hip_bfloat16E, .Lfunc_end0-_Z22FP8TrtAddQKVBiasKernel21FP8TrtAddQKVBiasParamI19__hip_fp8_e4m3_fnuz14__hip_bfloat16E
                                        ; -- End function
	.set _Z22FP8TrtAddQKVBiasKernel21FP8TrtAddQKVBiasParamI19__hip_fp8_e4m3_fnuz14__hip_bfloat16E.num_vgpr, 20
	.set _Z22FP8TrtAddQKVBiasKernel21FP8TrtAddQKVBiasParamI19__hip_fp8_e4m3_fnuz14__hip_bfloat16E.num_agpr, 0
	.set _Z22FP8TrtAddQKVBiasKernel21FP8TrtAddQKVBiasParamI19__hip_fp8_e4m3_fnuz14__hip_bfloat16E.numbered_sgpr, 14
	.set _Z22FP8TrtAddQKVBiasKernel21FP8TrtAddQKVBiasParamI19__hip_fp8_e4m3_fnuz14__hip_bfloat16E.num_named_barrier, 0
	.set _Z22FP8TrtAddQKVBiasKernel21FP8TrtAddQKVBiasParamI19__hip_fp8_e4m3_fnuz14__hip_bfloat16E.private_seg_size, 0
	.set _Z22FP8TrtAddQKVBiasKernel21FP8TrtAddQKVBiasParamI19__hip_fp8_e4m3_fnuz14__hip_bfloat16E.uses_vcc, 1
	.set _Z22FP8TrtAddQKVBiasKernel21FP8TrtAddQKVBiasParamI19__hip_fp8_e4m3_fnuz14__hip_bfloat16E.uses_flat_scratch, 0
	.set _Z22FP8TrtAddQKVBiasKernel21FP8TrtAddQKVBiasParamI19__hip_fp8_e4m3_fnuz14__hip_bfloat16E.has_dyn_sized_stack, 0
	.set _Z22FP8TrtAddQKVBiasKernel21FP8TrtAddQKVBiasParamI19__hip_fp8_e4m3_fnuz14__hip_bfloat16E.has_recursion, 0
	.set _Z22FP8TrtAddQKVBiasKernel21FP8TrtAddQKVBiasParamI19__hip_fp8_e4m3_fnuz14__hip_bfloat16E.has_indirect_call, 0
	.section	.AMDGPU.csdata,"",@progbits
; Kernel info:
; codeLenInByte = 3388
; TotalNumSgprs: 16
; NumVgprs: 20
; ScratchSize: 0
; MemoryBound: 0
; FloatMode: 240
; IeeeMode: 1
; LDSByteSize: 0 bytes/workgroup (compile time only)
; SGPRBlocks: 0
; VGPRBlocks: 1
; NumSGPRsForWavesPerEU: 16
; NumVGPRsForWavesPerEU: 20
; NamedBarCnt: 0
; Occupancy: 16
; WaveLimiterHint : 0
; COMPUTE_PGM_RSRC2:SCRATCH_EN: 0
; COMPUTE_PGM_RSRC2:USER_SGPR: 2
; COMPUTE_PGM_RSRC2:TRAP_HANDLER: 0
; COMPUTE_PGM_RSRC2:TGID_X_EN: 1
; COMPUTE_PGM_RSRC2:TGID_Y_EN: 0
; COMPUTE_PGM_RSRC2:TGID_Z_EN: 0
; COMPUTE_PGM_RSRC2:TIDIG_COMP_CNT: 2
	.text
	.p2alignl 7, 3214868480
	.fill 96, 4, 3214868480
	.section	.AMDGPU.gpr_maximums,"",@progbits
	.set amdgpu.max_num_vgpr, 0
	.set amdgpu.max_num_agpr, 0
	.set amdgpu.max_num_sgpr, 0
	.text
	.type	__hip_cuid_1e605efde1ff0c0,@object ; @__hip_cuid_1e605efde1ff0c0
	.section	.bss,"aw",@nobits
	.globl	__hip_cuid_1e605efde1ff0c0
__hip_cuid_1e605efde1ff0c0:
	.byte	0                               ; 0x0
	.size	__hip_cuid_1e605efde1ff0c0, 1

	.ident	"AMD clang version 22.0.0git (https://github.com/RadeonOpenCompute/llvm-project roc-7.2.4 26084 f58b06dce1f9c15707c5f808fd002e18c2accf7e)"
	.section	".note.GNU-stack","",@progbits
	.addrsig
	.addrsig_sym __hip_cuid_1e605efde1ff0c0
	.amdgpu_metadata
---
amdhsa.kernels:
  - .args:
      - .offset:         0
        .size:           56
        .value_kind:     by_value
    .group_segment_fixed_size: 0
    .kernarg_segment_align: 8
    .kernarg_segment_size: 56
    .language:       OpenCL C
    .language_version:
      - 2
      - 0
    .max_flat_workgroup_size: 1024
    .name:           _Z22FP8TrtAddQKVBiasKernel21FP8TrtAddQKVBiasParamI19__hip_fp8_e4m3_fnuz14__hip_bfloat16E
    .private_segment_fixed_size: 0
    .sgpr_count:     16
    .sgpr_spill_count: 0
    .symbol:         _Z22FP8TrtAddQKVBiasKernel21FP8TrtAddQKVBiasParamI19__hip_fp8_e4m3_fnuz14__hip_bfloat16E.kd
    .uniform_work_group_size: 1
    .uses_dynamic_stack: false
    .vgpr_count:     20
    .vgpr_spill_count: 0
    .wavefront_size: 32
amdhsa.target:   amdgcn-amd-amdhsa--gfx1250
amdhsa.version:
  - 1
  - 2
...

	.end_amdgpu_metadata
